;; amdgpu-corpus repo=ROCm/rocFFT kind=compiled arch=gfx906 opt=O3
	.text
	.amdgcn_target "amdgcn-amd-amdhsa--gfx906"
	.amdhsa_code_object_version 6
	.protected	fft_rtc_back_len1386_factors_2_7_3_11_3_wgs_231_tpt_231_halfLds_half_ip_CI_unitstride_sbrr_C2R_dirReg ; -- Begin function fft_rtc_back_len1386_factors_2_7_3_11_3_wgs_231_tpt_231_halfLds_half_ip_CI_unitstride_sbrr_C2R_dirReg
	.globl	fft_rtc_back_len1386_factors_2_7_3_11_3_wgs_231_tpt_231_halfLds_half_ip_CI_unitstride_sbrr_C2R_dirReg
	.p2align	8
	.type	fft_rtc_back_len1386_factors_2_7_3_11_3_wgs_231_tpt_231_halfLds_half_ip_CI_unitstride_sbrr_C2R_dirReg,@function
fft_rtc_back_len1386_factors_2_7_3_11_3_wgs_231_tpt_231_halfLds_half_ip_CI_unitstride_sbrr_C2R_dirReg: ; @fft_rtc_back_len1386_factors_2_7_3_11_3_wgs_231_tpt_231_halfLds_half_ip_CI_unitstride_sbrr_C2R_dirReg
; %bb.0:
	s_load_dwordx2 s[2:3], s[4:5], 0x50
	s_load_dwordx4 s[8:11], s[4:5], 0x0
	s_load_dwordx2 s[12:13], s[4:5], 0x18
	v_mul_u32_u24_e32 v1, 0x11c, v0
	v_add_u32_sdwa v5, s6, v1 dst_sel:DWORD dst_unused:UNUSED_PAD src0_sel:DWORD src1_sel:WORD_1
	v_mov_b32_e32 v3, 0
	s_waitcnt lgkmcnt(0)
	v_cmp_lt_u64_e64 s[0:1], s[10:11], 2
	v_mov_b32_e32 v1, 0
	v_mov_b32_e32 v6, v3
	s_and_b64 vcc, exec, s[0:1]
	v_mov_b32_e32 v2, 0
	s_cbranch_vccnz .LBB0_8
; %bb.1:
	s_load_dwordx2 s[0:1], s[4:5], 0x10
	s_add_u32 s6, s12, 8
	s_addc_u32 s7, s13, 0
	v_mov_b32_e32 v1, 0
	v_mov_b32_e32 v2, 0
	s_waitcnt lgkmcnt(0)
	s_add_u32 s14, s0, 8
	s_addc_u32 s15, s1, 0
	s_mov_b64 s[16:17], 1
.LBB0_2:                                ; =>This Inner Loop Header: Depth=1
	s_load_dwordx2 s[18:19], s[14:15], 0x0
                                        ; implicit-def: $vgpr7_vgpr8
	s_waitcnt lgkmcnt(0)
	v_or_b32_e32 v4, s19, v6
	v_cmp_ne_u64_e32 vcc, 0, v[3:4]
	s_and_saveexec_b64 s[0:1], vcc
	s_xor_b64 s[20:21], exec, s[0:1]
	s_cbranch_execz .LBB0_4
; %bb.3:                                ;   in Loop: Header=BB0_2 Depth=1
	v_cvt_f32_u32_e32 v4, s18
	v_cvt_f32_u32_e32 v7, s19
	s_sub_u32 s0, 0, s18
	s_subb_u32 s1, 0, s19
	v_mac_f32_e32 v4, 0x4f800000, v7
	v_rcp_f32_e32 v4, v4
	v_mul_f32_e32 v4, 0x5f7ffffc, v4
	v_mul_f32_e32 v7, 0x2f800000, v4
	v_trunc_f32_e32 v7, v7
	v_mac_f32_e32 v4, 0xcf800000, v7
	v_cvt_u32_f32_e32 v7, v7
	v_cvt_u32_f32_e32 v4, v4
	v_mul_lo_u32 v8, s0, v7
	v_mul_hi_u32 v9, s0, v4
	v_mul_lo_u32 v11, s1, v4
	v_mul_lo_u32 v10, s0, v4
	v_add_u32_e32 v8, v9, v8
	v_add_u32_e32 v8, v8, v11
	v_mul_hi_u32 v9, v4, v10
	v_mul_lo_u32 v11, v4, v8
	v_mul_hi_u32 v13, v4, v8
	v_mul_hi_u32 v12, v7, v10
	v_mul_lo_u32 v10, v7, v10
	v_mul_hi_u32 v14, v7, v8
	v_add_co_u32_e32 v9, vcc, v9, v11
	v_addc_co_u32_e32 v11, vcc, 0, v13, vcc
	v_mul_lo_u32 v8, v7, v8
	v_add_co_u32_e32 v9, vcc, v9, v10
	v_addc_co_u32_e32 v9, vcc, v11, v12, vcc
	v_addc_co_u32_e32 v10, vcc, 0, v14, vcc
	v_add_co_u32_e32 v8, vcc, v9, v8
	v_addc_co_u32_e32 v9, vcc, 0, v10, vcc
	v_add_co_u32_e32 v4, vcc, v4, v8
	v_addc_co_u32_e32 v7, vcc, v7, v9, vcc
	v_mul_lo_u32 v8, s0, v7
	v_mul_hi_u32 v9, s0, v4
	v_mul_lo_u32 v10, s1, v4
	v_mul_lo_u32 v11, s0, v4
	v_add_u32_e32 v8, v9, v8
	v_add_u32_e32 v8, v8, v10
	v_mul_lo_u32 v12, v4, v8
	v_mul_hi_u32 v13, v4, v11
	v_mul_hi_u32 v14, v4, v8
	;; [unrolled: 1-line block ×3, first 2 shown]
	v_mul_lo_u32 v11, v7, v11
	v_mul_hi_u32 v9, v7, v8
	v_add_co_u32_e32 v12, vcc, v13, v12
	v_addc_co_u32_e32 v13, vcc, 0, v14, vcc
	v_mul_lo_u32 v8, v7, v8
	v_add_co_u32_e32 v11, vcc, v12, v11
	v_addc_co_u32_e32 v10, vcc, v13, v10, vcc
	v_addc_co_u32_e32 v9, vcc, 0, v9, vcc
	v_add_co_u32_e32 v8, vcc, v10, v8
	v_addc_co_u32_e32 v9, vcc, 0, v9, vcc
	v_add_co_u32_e32 v4, vcc, v4, v8
	v_addc_co_u32_e32 v9, vcc, v7, v9, vcc
	v_mad_u64_u32 v[7:8], s[0:1], v5, v9, 0
	v_mul_hi_u32 v10, v5, v4
	v_add_co_u32_e32 v11, vcc, v10, v7
	v_addc_co_u32_e32 v12, vcc, 0, v8, vcc
	v_mad_u64_u32 v[7:8], s[0:1], v6, v4, 0
	v_mad_u64_u32 v[9:10], s[0:1], v6, v9, 0
	v_add_co_u32_e32 v4, vcc, v11, v7
	v_addc_co_u32_e32 v4, vcc, v12, v8, vcc
	v_addc_co_u32_e32 v7, vcc, 0, v10, vcc
	v_add_co_u32_e32 v4, vcc, v4, v9
	v_addc_co_u32_e32 v9, vcc, 0, v7, vcc
	v_mul_lo_u32 v10, s19, v4
	v_mul_lo_u32 v11, s18, v9
	v_mad_u64_u32 v[7:8], s[0:1], s18, v4, 0
	v_add3_u32 v8, v8, v11, v10
	v_sub_u32_e32 v10, v6, v8
	v_mov_b32_e32 v11, s19
	v_sub_co_u32_e32 v7, vcc, v5, v7
	v_subb_co_u32_e64 v10, s[0:1], v10, v11, vcc
	v_subrev_co_u32_e64 v11, s[0:1], s18, v7
	v_subbrev_co_u32_e64 v10, s[0:1], 0, v10, s[0:1]
	v_cmp_le_u32_e64 s[0:1], s19, v10
	v_cndmask_b32_e64 v12, 0, -1, s[0:1]
	v_cmp_le_u32_e64 s[0:1], s18, v11
	v_cndmask_b32_e64 v11, 0, -1, s[0:1]
	v_cmp_eq_u32_e64 s[0:1], s19, v10
	v_cndmask_b32_e64 v10, v12, v11, s[0:1]
	v_add_co_u32_e64 v11, s[0:1], 2, v4
	v_addc_co_u32_e64 v12, s[0:1], 0, v9, s[0:1]
	v_add_co_u32_e64 v13, s[0:1], 1, v4
	v_addc_co_u32_e64 v14, s[0:1], 0, v9, s[0:1]
	v_subb_co_u32_e32 v8, vcc, v6, v8, vcc
	v_cmp_ne_u32_e64 s[0:1], 0, v10
	v_cmp_le_u32_e32 vcc, s19, v8
	v_cndmask_b32_e64 v10, v14, v12, s[0:1]
	v_cndmask_b32_e64 v12, 0, -1, vcc
	v_cmp_le_u32_e32 vcc, s18, v7
	v_cndmask_b32_e64 v7, 0, -1, vcc
	v_cmp_eq_u32_e32 vcc, s19, v8
	v_cndmask_b32_e32 v7, v12, v7, vcc
	v_cmp_ne_u32_e32 vcc, 0, v7
	v_cndmask_b32_e64 v7, v13, v11, s[0:1]
	v_cndmask_b32_e32 v8, v9, v10, vcc
	v_cndmask_b32_e32 v7, v4, v7, vcc
.LBB0_4:                                ;   in Loop: Header=BB0_2 Depth=1
	s_andn2_saveexec_b64 s[0:1], s[20:21]
	s_cbranch_execz .LBB0_6
; %bb.5:                                ;   in Loop: Header=BB0_2 Depth=1
	v_cvt_f32_u32_e32 v4, s18
	s_sub_i32 s20, 0, s18
	v_rcp_iflag_f32_e32 v4, v4
	v_mul_f32_e32 v4, 0x4f7ffffe, v4
	v_cvt_u32_f32_e32 v4, v4
	v_mul_lo_u32 v7, s20, v4
	v_mul_hi_u32 v7, v4, v7
	v_add_u32_e32 v4, v4, v7
	v_mul_hi_u32 v4, v5, v4
	v_mul_lo_u32 v7, v4, s18
	v_add_u32_e32 v8, 1, v4
	v_sub_u32_e32 v7, v5, v7
	v_subrev_u32_e32 v9, s18, v7
	v_cmp_le_u32_e32 vcc, s18, v7
	v_cndmask_b32_e32 v7, v7, v9, vcc
	v_cndmask_b32_e32 v4, v4, v8, vcc
	v_add_u32_e32 v8, 1, v4
	v_cmp_le_u32_e32 vcc, s18, v7
	v_cndmask_b32_e32 v7, v4, v8, vcc
	v_mov_b32_e32 v8, v3
.LBB0_6:                                ;   in Loop: Header=BB0_2 Depth=1
	s_or_b64 exec, exec, s[0:1]
	v_mul_lo_u32 v4, v8, s18
	v_mul_lo_u32 v11, v7, s19
	v_mad_u64_u32 v[9:10], s[0:1], v7, s18, 0
	s_load_dwordx2 s[0:1], s[6:7], 0x0
	s_add_u32 s16, s16, 1
	v_add3_u32 v4, v10, v11, v4
	v_sub_co_u32_e32 v5, vcc, v5, v9
	v_subb_co_u32_e32 v4, vcc, v6, v4, vcc
	s_waitcnt lgkmcnt(0)
	v_mul_lo_u32 v4, s0, v4
	v_mul_lo_u32 v6, s1, v5
	v_mad_u64_u32 v[1:2], s[0:1], s0, v5, v[1:2]
	s_addc_u32 s17, s17, 0
	s_add_u32 s6, s6, 8
	v_add3_u32 v2, v6, v2, v4
	v_mov_b32_e32 v4, s10
	v_mov_b32_e32 v5, s11
	s_addc_u32 s7, s7, 0
	v_cmp_ge_u64_e32 vcc, s[16:17], v[4:5]
	s_add_u32 s14, s14, 8
	s_addc_u32 s15, s15, 0
	s_cbranch_vccnz .LBB0_9
; %bb.7:                                ;   in Loop: Header=BB0_2 Depth=1
	v_mov_b32_e32 v5, v7
	v_mov_b32_e32 v6, v8
	s_branch .LBB0_2
.LBB0_8:
	v_mov_b32_e32 v8, v6
	v_mov_b32_e32 v7, v5
.LBB0_9:
	s_lshl_b64 s[0:1], s[10:11], 3
	s_add_u32 s0, s12, s0
	s_addc_u32 s1, s13, s1
	s_load_dwordx2 s[6:7], s[0:1], 0x0
	s_load_dwordx2 s[10:11], s[4:5], 0x20
	s_waitcnt lgkmcnt(0)
	v_mad_u64_u32 v[1:2], s[0:1], s6, v7, v[1:2]
	v_mul_lo_u32 v3, s6, v8
	v_mul_lo_u32 v4, s7, v7
	s_mov_b32 s0, 0x11bb4a5
	v_mul_hi_u32 v5, v0, s0
	v_cmp_gt_u64_e64 s[0:1], s[10:11], v[7:8]
	v_add3_u32 v2, v4, v2, v3
	v_lshlrev_b64 v[2:3], 2, v[1:2]
	v_mul_u32_u24_e32 v4, 0xe7, v5
	v_sub_u32_e32 v0, v0, v4
	s_and_saveexec_b64 s[4:5], s[0:1]
	s_cbranch_execz .LBB0_13
; %bb.10:
	v_mov_b32_e32 v1, 0
	v_mov_b32_e32 v4, s3
	v_add_co_u32_e32 v5, vcc, s2, v2
	v_lshlrev_b64 v[6:7], 2, v[0:1]
	v_addc_co_u32_e32 v4, vcc, v4, v3, vcc
	v_add_co_u32_e32 v6, vcc, v5, v6
	v_addc_co_u32_e32 v7, vcc, v4, v7, vcc
	v_add_co_u32_e32 v8, vcc, 0x1000, v6
	v_addc_co_u32_e32 v9, vcc, 0, v7, vcc
	global_load_dword v10, v[6:7], off
	global_load_dword v11, v[6:7], off offset:924
	global_load_dword v12, v[6:7], off offset:1848
	;; [unrolled: 1-line block ×5, first 2 shown]
	s_movk_i32 s6, 0xe6
	v_lshl_add_u32 v6, v0, 2, 0
	v_cmp_eq_u32_e32 vcc, s6, v0
	v_add_u32_e32 v7, 0x700, v6
	v_add_u32_e32 v8, 0xe40, v6
	s_waitcnt vmcnt(4)
	ds_write2_b32 v6, v10, v11 offset1:231
	s_waitcnt vmcnt(2)
	ds_write2_b32 v7, v12, v13 offset0:14 offset1:245
	s_waitcnt vmcnt(0)
	ds_write2_b32 v8, v14, v15 offset0:12 offset1:243
	s_and_saveexec_b64 s[6:7], vcc
	s_cbranch_execz .LBB0_12
; %bb.11:
	v_add_co_u32_e32 v5, vcc, 0x1000, v5
	v_addc_co_u32_e32 v6, vcc, 0, v4, vcc
	global_load_dword v0, v[5:6], off offset:1448
	s_waitcnt vmcnt(0)
	ds_write_b32 v1, v0 offset:5544
	v_mov_b32_e32 v0, 0xe6
.LBB0_12:
	s_or_b64 exec, exec, s[6:7]
.LBB0_13:
	s_or_b64 exec, exec, s[4:5]
	v_lshlrev_b32_e32 v1, 2, v0
	v_add_u32_e32 v15, 0, v1
	s_waitcnt lgkmcnt(0)
	s_barrier
	v_sub_u32_e32 v6, 0, v1
	ds_read_u16 v9, v15
	ds_read_u16 v10, v6 offset:5544
	s_add_u32 s6, s8, 0x15a0
	s_addc_u32 s7, s9, 0
	v_cmp_ne_u32_e32 vcc, 0, v0
                                        ; implicit-def: $vgpr4_vgpr5
	s_waitcnt lgkmcnt(0)
	v_add_f16_e32 v7, v10, v9
	v_sub_f16_e32 v8, v9, v10
	s_and_saveexec_b64 s[4:5], vcc
	s_xor_b64 s[4:5], exec, s[4:5]
	s_cbranch_execz .LBB0_15
; %bb.14:
	v_mov_b32_e32 v1, 0
	v_lshlrev_b64 v[4:5], 2, v[0:1]
	v_mov_b32_e32 v7, s7
	v_add_co_u32_e32 v4, vcc, s6, v4
	v_addc_co_u32_e32 v5, vcc, v7, v5, vcc
	global_load_dword v4, v[4:5], off
	ds_read_u16 v5, v6 offset:5546
	ds_read_u16 v7, v15 offset:2
	v_add_f16_e32 v8, v10, v9
	v_sub_f16_e32 v9, v9, v10
	s_waitcnt lgkmcnt(0)
	v_add_f16_e32 v10, v5, v7
	v_sub_f16_e32 v5, v7, v5
	s_waitcnt vmcnt(0)
	v_lshrrev_b32_e32 v7, 16, v4
	v_fma_f16 v11, v9, v7, v8
	v_fma_f16 v12, v10, v7, v5
	v_fma_f16 v13, -v9, v7, v8
	v_fma_f16 v5, v10, v7, -v5
	v_fma_f16 v7, -v4, v10, v11
	v_fma_f16 v8, v9, v4, v12
	v_fma_f16 v10, v4, v10, v13
	;; [unrolled: 1-line block ×3, first 2 shown]
	v_pack_b32_f16 v4, v10, v4
	ds_write_b32 v6, v4 offset:5544
	v_mov_b32_e32 v5, v1
	v_mov_b32_e32 v4, v0
.LBB0_15:
	s_andn2_saveexec_b64 s[4:5], s[4:5]
	s_cbranch_execz .LBB0_17
; %bb.16:
	v_mov_b32_e32 v1, 0
	ds_read_b32 v4, v1 offset:2772
	s_mov_b32 s10, 0xc0004000
	s_waitcnt lgkmcnt(0)
	v_pk_mul_f16 v9, v4, s10
	v_mov_b32_e32 v4, 0
	v_mov_b32_e32 v5, 0
	ds_write_b32 v1, v9 offset:2772
.LBB0_17:
	s_or_b64 exec, exec, s[4:5]
	v_lshlrev_b64 v[4:5], 2, v[4:5]
	v_mov_b32_e32 v1, s7
	v_add_co_u32_e32 v4, vcc, s6, v4
	v_addc_co_u32_e32 v5, vcc, v1, v5, vcc
	global_load_dword v1, v[4:5], off offset:924
	global_load_dword v9, v[4:5], off offset:1848
	s_mov_b32 s4, 0x5040100
	v_perm_b32 v4, v8, v7, s4
	ds_write_b32 v15, v4
	ds_read_b32 v4, v15 offset:924
	ds_read_b32 v5, v6 offset:4620
	v_lshl_add_u32 v10, v0, 3, 0
	v_add_u32_e32 v7, 0x700, v15
	v_add_u32_e32 v8, 0xe40, v15
	;; [unrolled: 1-line block ×3, first 2 shown]
	s_waitcnt lgkmcnt(0)
	v_add_f16_e32 v11, v4, v5
	v_add_f16_sdwa v12, v5, v4 dst_sel:DWORD dst_unused:UNUSED_PAD src0_sel:WORD_1 src1_sel:WORD_1
	v_sub_f16_e32 v13, v4, v5
	v_sub_f16_sdwa v4, v4, v5 dst_sel:DWORD dst_unused:UNUSED_PAD src0_sel:WORD_1 src1_sel:WORD_1
	v_lshl_add_u32 v14, v0, 2, v15
	s_movk_i32 s4, 0xc6
	v_cmp_gt_u32_e32 vcc, s4, v0
	s_waitcnt vmcnt(1)
	v_lshrrev_b32_e32 v5, 16, v1
	v_fma_f16 v16, v13, v5, v11
	v_fma_f16 v18, v12, v5, v4
	v_fma_f16 v11, -v13, v5, v11
	v_fma_f16 v4, v12, v5, -v4
	v_fma_f16 v5, -v1, v12, v16
	v_fma_f16 v16, v13, v1, v18
	v_fma_f16 v11, v1, v12, v11
	;; [unrolled: 1-line block ×3, first 2 shown]
	v_pack_b32_f16 v4, v5, v16
	v_pack_b32_f16 v1, v11, v1
	ds_write_b32 v15, v4 offset:924
	ds_write_b32 v6, v1 offset:4620
	ds_read_b32 v1, v15 offset:1848
	ds_read_b32 v4, v6 offset:3696
	v_add_u32_e32 v18, 0xe70, v10
	s_waitcnt vmcnt(0)
	v_lshrrev_b32_e32 v5, 16, v9
	v_lshl_add_u32 v16, v17, 3, 0
	s_waitcnt lgkmcnt(0)
	v_add_f16_e32 v10, v1, v4
	v_add_f16_sdwa v11, v4, v1 dst_sel:DWORD dst_unused:UNUSED_PAD src0_sel:WORD_1 src1_sel:WORD_1
	v_sub_f16_e32 v12, v1, v4
	v_sub_f16_sdwa v1, v1, v4 dst_sel:DWORD dst_unused:UNUSED_PAD src0_sel:WORD_1 src1_sel:WORD_1
	v_fma_f16 v4, v12, v5, v10
	v_fma_f16 v13, v11, v5, v1
	v_fma_f16 v10, -v12, v5, v10
	v_fma_f16 v1, v11, v5, -v1
	v_fma_f16 v4, -v9, v11, v4
	v_fma_f16 v5, v12, v9, v13
	v_fma_f16 v10, v9, v11, v10
	;; [unrolled: 1-line block ×3, first 2 shown]
	v_pack_b32_f16 v4, v4, v5
	v_pack_b32_f16 v1, v10, v1
	ds_write_b32 v15, v4 offset:1848
	ds_write_b32 v6, v1 offset:3696
	s_waitcnt lgkmcnt(0)
	s_barrier
	s_barrier
	ds_read2_b32 v[10:11], v15 offset1:231
	ds_read2_b32 v[6:7], v7 offset0:14 offset1:245
	ds_read2_b32 v[12:13], v8 offset0:12 offset1:243
	s_waitcnt lgkmcnt(0)
	s_barrier
	v_pk_add_f16 v5, v10, v7 neg_lo:[0,1] neg_hi:[0,1]
	v_pk_add_f16 v9, v11, v12 neg_lo:[0,1] neg_hi:[0,1]
	;; [unrolled: 1-line block ×3, first 2 shown]
	v_pk_fma_f16 v4, v10, 2.0, v5 op_sel_hi:[1,0,1] neg_lo:[0,0,1] neg_hi:[0,0,1]
	v_pk_fma_f16 v8, v11, 2.0, v9 op_sel_hi:[1,0,1] neg_lo:[0,0,1] neg_hi:[0,0,1]
	;; [unrolled: 1-line block ×3, first 2 shown]
	v_lshrrev_b32_e32 v10, 16, v5
	v_lshrrev_b32_e32 v12, 16, v9
	;; [unrolled: 1-line block ×3, first 2 shown]
	ds_write2_b32 v14, v4, v5 offset1:1
	v_lshrrev_b32_e32 v14, 16, v8
	ds_write2_b32 v16, v8, v9 offset1:1
	v_lshrrev_b32_e32 v16, 16, v6
	ds_write2_b32 v18, v6, v7 offset1:1
	s_waitcnt lgkmcnt(0)
	s_barrier
	s_waitcnt lgkmcnt(0)
                                        ; implicit-def: $vgpr18
                                        ; implicit-def: $vgpr11
	s_and_saveexec_b64 s[4:5], vcc
	s_cbranch_execz .LBB0_19
; %bb.18:
	v_add_u32_e32 v1, 0x600, v15
	ds_read2_b32 v[8:9], v1 offset0:12 offset1:210
	v_add_u32_e32 v1, 0xc00, v15
	ds_read2_b32 v[4:5], v15 offset1:198
	ds_read2_b32 v[6:7], v1 offset0:24 offset1:222
	ds_read_b32 v11, v15 offset:4752
	s_waitcnt lgkmcnt(3)
	v_lshrrev_b32_e32 v14, 16, v8
	v_lshrrev_b32_e32 v12, 16, v9
	s_waitcnt lgkmcnt(2)
	v_lshrrev_b32_e32 v10, 16, v5
	s_waitcnt lgkmcnt(1)
	v_lshrrev_b32_e32 v16, 16, v6
	v_lshrrev_b32_e32 v13, 16, v7
	s_waitcnt lgkmcnt(0)
	v_lshrrev_b32_e32 v18, 16, v11
.LBB0_19:
	s_or_b64 exec, exec, s[4:5]
	v_and_b32_e32 v1, 1, v0
	v_mul_u32_u24_e32 v19, 6, v1
	v_lshlrev_b32_e32 v25, 2, v19
	global_load_dwordx4 v[19:22], v25, s[8:9]
	global_load_dwordx2 v[23:24], v25, s[8:9] offset:16
	s_movk_i32 s4, 0x2b26
	s_movk_i32 s6, 0x3846
	s_mov_b32 s7, 0xbcab
	s_mov_b32 s5, 0xb70e
	s_waitcnt vmcnt(0)
	s_barrier
	v_mul_f16_sdwa v25, v14, v20 dst_sel:DWORD dst_unused:UNUSED_PAD src0_sel:DWORD src1_sel:WORD_1
	v_mul_f16_sdwa v26, v12, v21 dst_sel:DWORD dst_unused:UNUSED_PAD src0_sel:DWORD src1_sel:WORD_1
	;; [unrolled: 1-line block ×12, first 2 shown]
	v_fma_f16 v25, v8, v20, v25
	v_fma_f16 v26, v9, v21, v26
	v_fma_f16 v9, v14, v20, -v27
	v_fma_f16 v20, v12, v21, -v28
	;; [unrolled: 1-line block ×3, first 2 shown]
	v_fma_f16 v5, v5, v19, v30
	v_fma_f16 v14, v7, v23, v33
	v_fma_f16 v21, v13, v23, -v34
	v_fma_f16 v7, v11, v24, v35
	v_fma_f16 v11, v18, v24, -v36
	v_fma_f16 v16, v16, v22, -v31
	v_fma_f16 v19, v6, v22, v32
	v_add_f16_e32 v6, v5, v7
	v_add_f16_e32 v10, v8, v11
	v_sub_f16_e32 v13, v5, v7
	v_sub_f16_e32 v7, v8, v11
	v_add_f16_e32 v8, v25, v14
	v_add_f16_e32 v12, v9, v21
	v_sub_f16_e32 v14, v25, v14
	v_sub_f16_e32 v9, v9, v21
	;; [unrolled: 4-line block ×4, first 2 shown]
	v_sub_f16_e32 v22, v10, v11
	v_add_f16_e32 v23, v18, v14
	v_sub_f16_e32 v26, v18, v14
	v_sub_f16_e32 v18, v13, v18
	v_add_f16_e32 v24, v16, v9
	v_sub_f16_e32 v29, v16, v9
	v_sub_f16_e32 v16, v7, v16
	v_add_f16_e32 v5, v5, v19
	v_add_f16_e32 v19, v11, v20
	v_sub_f16_e32 v27, v11, v12
	v_add_f16_e32 v32, v23, v13
	v_add_f16_e32 v33, v24, v7
	v_mul_f16_e32 v23, 0x3a52, v21
	v_mul_f16_e32 v28, 0x3a52, v22
	v_mul_f16_e32 v31, 0xb574, v18
	v_mul_f16_e32 v24, 0xb574, v16
	v_add_f16_e32 v11, v4, v5
	v_add_f16_sdwa v4, v4, v19 dst_sel:DWORD dst_unused:UNUSED_PAD src0_sel:WORD_1 src1_sel:DWORD
	v_fma_f16 v16, v26, s6, v31
	v_fma_f16 v20, v29, s6, v24
	;; [unrolled: 1-line block ×8, first 2 shown]
	v_add_f16_e32 v20, v21, v22
	v_add_f16_e32 v21, v34, v30
	;; [unrolled: 1-line block ×3, first 2 shown]
	v_sub_f16_e32 v5, v20, v19
	s_and_saveexec_b64 s[4:5], vcc
	s_cbranch_execz .LBB0_21
; %bb.20:
	v_sub_f16_e32 v13, v14, v13
	s_movk_i32 s6, 0x3b00
	v_sub_f16_e32 v10, v12, v10
	s_mov_b32 s7, 0xb9e0
	v_sub_f16_e32 v6, v8, v6
	v_sub_f16_e32 v7, v9, v7
	v_mul_f16_e32 v27, 0x2b26, v27
	v_mul_f16_e32 v26, 0x3846, v26
	v_fma_f16 v14, v13, s6, -v31
	v_fma_f16 v12, v10, s7, -v28
	;; [unrolled: 1-line block ×4, first 2 shown]
	s_movk_i32 s6, 0x39e0
	s_mov_b32 s7, 0xbb00
	v_mul_f16_e32 v32, 0xb70e, v32
	v_fma_f16 v10, v10, s6, -v27
	v_fma_f16 v13, v13, s7, -v26
	v_mul_f16_e32 v25, 0x2b26, v25
	v_mul_f16_e32 v29, 0x3846, v29
	v_add_f16_e32 v10, v10, v30
	v_add_f16_e32 v13, v32, v13
	v_mul_f16_e32 v33, 0xb70e, v33
	v_sub_f16_e32 v24, v10, v13
	v_fma_f16 v7, v7, s7, -v29
	v_fma_f16 v6, v6, s6, -v25
	v_add_f16_e32 v10, v13, v10
	v_lshrrev_b32_e32 v13, 1, v0
	v_add_f16_e32 v14, v32, v14
	v_add_f16_e32 v12, v12, v30
	v_add_f16_e32 v8, v8, v22
	v_add_f16_e32 v9, v33, v9
	v_add_f16_e32 v7, v33, v7
	v_add_f16_e32 v6, v6, v22
	v_mul_u32_u24_e32 v13, 14, v13
	v_add_f16_e32 v28, v14, v12
	v_sub_f16_e32 v23, v8, v9
	v_add_f16_e32 v22, v7, v6
	v_sub_f16_e32 v6, v6, v7
	v_sub_f16_e32 v7, v12, v14
	v_add_f16_e32 v8, v9, v8
	v_sub_f16_e32 v9, v21, v18
	v_add_f16_e32 v12, v19, v20
	v_or_b32_e32 v1, v13, v1
	s_mov_b32 s6, 0x5040100
	v_lshl_add_u32 v1, v1, 2, 0
	v_perm_b32 v4, v4, v11, s6
	v_pack_b32_f16 v9, v12, v9
	ds_write2_b32 v1, v4, v9 offset1:2
	v_pack_b32_f16 v4, v8, v7
	v_pack_b32_f16 v6, v6, v10
	ds_write2_b32 v1, v4, v6 offset0:4 offset1:6
	v_pack_b32_f16 v4, v22, v24
	v_pack_b32_f16 v6, v23, v28
	ds_write2_b32 v1, v4, v6 offset0:8 offset1:10
	v_perm_b32 v4, v16, v5, s6
	ds_write_b32 v1, v4 offset:48
.LBB0_21:
	s_or_b64 exec, exec, s[4:5]
	v_lshrrev_b16_e32 v1, 1, v0
	v_and_b32_e32 v18, 0x7f, v1
	v_mul_lo_u16_e32 v1, 0x93, v18
	v_lshrrev_b16_e32 v7, 1, v17
	v_lshrrev_b16_e32 v1, 10, v1
	v_mul_u32_u24_e32 v7, 0x4925, v7
	v_mul_lo_u16_e32 v4, 14, v1
	v_lshrrev_b32_e32 v14, 17, v7
	v_sub_u16_e32 v4, v0, v4
	v_mov_b32_e32 v6, 3
	v_mul_lo_u16_e32 v8, 14, v14
	v_lshlrev_b32_sdwa v6, v6, v4 dst_sel:DWORD dst_unused:UNUSED_PAD src0_sel:DWORD src1_sel:BYTE_0
	v_sub_u16_e32 v21, v17, v8
	s_waitcnt lgkmcnt(0)
	s_barrier
	global_load_dwordx2 v[6:7], v6, s[8:9] offset:48
	v_lshlrev_b32_e32 v8, 3, v21
	global_load_dwordx2 v[8:9], v8, s[8:9] offset:48
	v_add_u32_e32 v12, 0x700, v15
	v_add_u32_e32 v19, 0xe40, v15
	ds_read2_b32 v[10:11], v15 offset1:231
	ds_read_u16 v22, v15 offset:2
	ds_read2_b32 v[12:13], v12 offset0:14 offset1:245
	ds_read2_b32 v[19:20], v19 offset0:12 offset1:243
	v_mov_b32_e32 v23, 2
	v_mul_u32_u24_e32 v14, 0xa8, v14
	v_mul_u32_u24_e32 v1, 0xa8, v1
	v_lshlrev_b32_e32 v21, 2, v21
	s_waitcnt lgkmcnt(1)
	v_lshrrev_b32_e32 v25, 16, v12
	s_waitcnt lgkmcnt(0)
	v_lshrrev_b32_e32 v26, 16, v19
	v_lshlrev_b32_sdwa v4, v23, v4 dst_sel:DWORD dst_unused:UNUSED_PAD src0_sel:DWORD src1_sel:BYTE_0
	v_lshrrev_b32_e32 v27, 16, v13
	v_lshrrev_b32_e32 v28, 16, v20
	v_add3_u32 v14, 0, v14, v21
	v_add3_u32 v4, 0, v1, v4
	v_lshrrev_b32_e32 v24, 16, v11
	s_mov_b32 s4, 0xbaee
	s_movk_i32 s5, 0x3aee
	s_waitcnt vmcnt(0)
	s_barrier
	v_mul_f16_sdwa v1, v6, v25 dst_sel:DWORD dst_unused:UNUSED_PAD src0_sel:WORD_1 src1_sel:DWORD
	v_mul_f16_sdwa v21, v6, v12 dst_sel:DWORD dst_unused:UNUSED_PAD src0_sel:WORD_1 src1_sel:DWORD
	;; [unrolled: 1-line block ×8, first 2 shown]
	v_fma_f16 v1, v6, v12, v1
	v_fma_f16 v6, v6, v25, -v21
	v_fma_f16 v12, v7, v19, v23
	v_fma_f16 v19, v7, v26, -v29
	;; [unrolled: 2-line block ×4, first 2 shown]
	v_add_f16_e32 v21, v1, v12
	v_sub_f16_e32 v23, v6, v19
	v_add_f16_e32 v25, v22, v6
	v_add_f16_e32 v6, v6, v19
	;; [unrolled: 1-line block ×3, first 2 shown]
	v_sub_f16_e32 v26, v1, v12
	v_add_f16_e32 v27, v11, v7
	v_add_f16_e32 v28, v7, v13
	v_sub_f16_e32 v29, v8, v9
	v_add_f16_e32 v30, v24, v8
	v_add_f16_e32 v8, v8, v9
	v_fma_f16 v10, v21, -0.5, v10
	v_fma_f16 v6, v6, -0.5, v22
	v_sub_f16_e32 v31, v7, v13
	v_add_f16_e32 v7, v20, v12
	v_add_f16_e32 v1, v25, v19
	;; [unrolled: 1-line block ×3, first 2 shown]
	v_fma_f16 v13, v28, -0.5, v11
	v_fma_f16 v20, v8, -0.5, v24
	v_fma_f16 v8, v23, s4, v10
	v_fma_f16 v19, v26, s5, v6
	v_add_f16_e32 v21, v30, v9
	v_fma_f16 v11, v23, s5, v10
	v_fma_f16 v22, v26, s4, v6
	;; [unrolled: 1-line block ×6, first 2 shown]
	v_pack_b32_f16 v6, v7, v1
	v_pack_b32_f16 v23, v8, v19
	s_movk_i32 s4, 0x7e
	v_pack_b32_f16 v13, v12, v21
	v_pack_b32_f16 v24, v11, v22
	;; [unrolled: 1-line block ×3, first 2 shown]
	ds_write2_b32 v4, v6, v23 offset1:14
	ds_write_b32 v4, v24 offset:112
	ds_write2_b32 v14, v13, v26 offset1:14
	v_pack_b32_f16 v4, v10, v20
	v_cmp_gt_u32_e32 vcc, s4, v0
	ds_write_b32 v14, v4 offset:112
	s_waitcnt lgkmcnt(0)
	s_barrier
	s_waitcnt lgkmcnt(0)
                                        ; implicit-def: $vgpr27
                                        ; implicit-def: $vgpr24
                                        ; implicit-def: $vgpr26
                                        ; implicit-def: $vgpr14
                                        ; implicit-def: $vgpr23
                                        ; implicit-def: $vgpr28
	s_and_saveexec_b64 s[4:5], vcc
	s_cbranch_execz .LBB0_23
; %bb.22:
	v_add_u32_e32 v1, 0x200, v15
	v_add_u32_e32 v4, 0x600, v15
	;; [unrolled: 1-line block ×3, first 2 shown]
	ds_read2_b32 v[7:8], v15 offset1:126
	ds_read2_b32 v[11:12], v1 offset0:124 offset1:250
	ds_read2_b32 v[13:14], v5 offset0:112 offset1:238
	;; [unrolled: 1-line block ×3, first 2 shown]
	ds_read_b32 v24, v15 offset:5040
	v_add_u32_e32 v4, 0xa00, v15
	ds_read2_b32 v[5:6], v4 offset0:116 offset1:242
	s_waitcnt lgkmcnt(5)
	v_lshrrev_b32_e32 v1, 16, v7
	s_waitcnt lgkmcnt(3)
	v_lshrrev_b32_e32 v23, 16, v13
	v_lshrrev_b32_e32 v26, 16, v14
	s_waitcnt lgkmcnt(1)
	v_lshrrev_b32_e32 v27, 16, v24
	v_lshrrev_b32_e32 v19, 16, v8
	;; [unrolled: 1-line block ×6, first 2 shown]
	s_waitcnt lgkmcnt(0)
	v_lshrrev_b32_e32 v16, 16, v5
	v_lshrrev_b32_e32 v28, 16, v6
.LBB0_23:
	s_or_b64 exec, exec, s[4:5]
	v_lshlrev_b32_e32 v4, 1, v17
	s_barrier
	s_and_saveexec_b64 s[4:5], vcc
	s_cbranch_execz .LBB0_25
; %bb.24:
	v_mul_lo_u16_e32 v17, 49, v18
	v_lshrrev_b16_e32 v17, 10, v17
	v_mul_lo_u16_e32 v18, 42, v17
	v_sub_u16_e32 v18, v0, v18
	v_mov_b32_e32 v29, 10
	v_mul_u32_u24_sdwa v29, v18, v29 dst_sel:DWORD dst_unused:UNUSED_PAD src0_sel:BYTE_0 src1_sel:DWORD
	v_lshlrev_b32_e32 v39, 2, v29
	global_load_dwordx4 v[29:32], v39, s[8:9] offset:160
	global_load_dwordx2 v[37:38], v39, s[8:9] offset:192
	global_load_dwordx4 v[33:36], v39, s[8:9] offset:176
	s_mov_b32 s6, 0xbbad
	s_movk_i32 s12, 0x3abb
	s_mov_b32 s7, 0xb93d
	s_movk_i32 s11, 0x36a6
	;; [unrolled: 2-line block ×7, first 2 shown]
	s_waitcnt vmcnt(2)
	v_mul_f16_sdwa v43, v8, v29 dst_sel:DWORD dst_unused:UNUSED_PAD src0_sel:DWORD src1_sel:WORD_1
	s_waitcnt vmcnt(1)
	v_mul_f16_sdwa v47, v24, v38 dst_sel:DWORD dst_unused:UNUSED_PAD src0_sel:DWORD src1_sel:WORD_1
	v_mul_f16_sdwa v44, v19, v29 dst_sel:DWORD dst_unused:UNUSED_PAD src0_sel:DWORD src1_sel:WORD_1
	;; [unrolled: 1-line block ×5, first 2 shown]
	v_fma_f16 v19, v19, v29, -v43
	v_fma_f16 v27, v27, v38, -v47
	v_mul_f16_sdwa v39, v22, v30 dst_sel:DWORD dst_unused:UNUSED_PAD src0_sel:DWORD src1_sel:WORD_1
	v_mul_f16_sdwa v40, v21, v31 dst_sel:DWORD dst_unused:UNUSED_PAD src0_sel:DWORD src1_sel:WORD_1
	;; [unrolled: 1-line block ×6, first 2 shown]
	s_waitcnt vmcnt(0)
	v_mul_f16_sdwa v51, v23, v36 dst_sel:DWORD dst_unused:UNUSED_PAD src0_sel:DWORD src1_sel:WORD_1
	v_mul_f16_sdwa v52, v13, v36 dst_sel:DWORD dst_unused:UNUSED_PAD src0_sel:DWORD src1_sel:WORD_1
	v_mul_f16_sdwa v53, v28, v35 dst_sel:DWORD dst_unused:UNUSED_PAD src0_sel:DWORD src1_sel:WORD_1
	v_mul_f16_sdwa v54, v16, v34 dst_sel:DWORD dst_unused:UNUSED_PAD src0_sel:DWORD src1_sel:WORD_1
	v_mul_f16_sdwa v55, v6, v35 dst_sel:DWORD dst_unused:UNUSED_PAD src0_sel:DWORD src1_sel:WORD_1
	v_mul_f16_sdwa v56, v5, v34 dst_sel:DWORD dst_unused:UNUSED_PAD src0_sel:DWORD src1_sel:WORD_1
	v_fma_f16 v25, v25, v32, -v45
	v_fma_f16 v8, v8, v29, v44
	v_fma_f16 v9, v9, v32, v46
	;; [unrolled: 1-line block ×3, first 2 shown]
	v_sub_f16_e32 v29, v19, v27
	v_add_f16_e32 v32, v19, v27
	v_mul_f16_sdwa v57, v20, v33 dst_sel:DWORD dst_unused:UNUSED_PAD src0_sel:DWORD src1_sel:WORD_1
	v_mul_f16_sdwa v58, v10, v33 dst_sel:DWORD dst_unused:UNUSED_PAD src0_sel:DWORD src1_sel:WORD_1
	v_fma_f16 v11, v11, v30, v39
	v_fma_f16 v12, v12, v31, v40
	v_fma_f16 v22, v22, v30, -v41
	v_fma_f16 v21, v21, v31, -v42
	;; [unrolled: 1-line block ×3, first 2 shown]
	v_fma_f16 v14, v14, v37, v50
	v_fma_f16 v13, v13, v36, v51
	;; [unrolled: 1-line block ×4, first 2 shown]
	v_fma_f16 v23, v23, v36, -v52
	v_fma_f16 v28, v28, v35, -v55
	;; [unrolled: 1-line block ×3, first 2 shown]
	v_add_f16_e32 v30, v8, v24
	v_add_f16_e32 v31, v7, v8
	v_sub_f16_e32 v8, v8, v24
	v_mul_f16_e32 v34, 0xb482, v29
	v_mul_f16_e32 v35, 0xba0c, v29
	;; [unrolled: 1-line block ×6, first 2 shown]
	v_fma_f16 v10, v10, v33, v57
	v_fma_f16 v20, v20, v33, -v58
	v_add_f16_e32 v33, v22, v26
	v_fma_f16 v40, v30, s6, v34
	v_fma_f16 v34, v30, s6, -v34
	v_fma_f16 v41, v30, s7, v35
	v_fma_f16 v35, v30, s7, -v35
	;; [unrolled: 2-line block ×5, first 2 shown]
	v_fma_f16 v30, v8, s14, v38
	v_mul_f16_e32 v39, 0x3abb, v33
	v_add_f16_e32 v40, v7, v40
	v_add_f16_e32 v41, v7, v41
	;; [unrolled: 1-line block ×11, first 2 shown]
	v_sub_f16_e32 v30, v11, v14
	v_fma_f16 v45, v30, s13, v39
	v_add_f16_e32 v29, v45, v29
	v_add_f16_e32 v45, v21, v23
	v_mul_f16_e32 v46, 0xb93d, v45
	v_sub_f16_e32 v47, v12, v13
	v_fma_f16 v48, v47, s18, v46
	v_add_f16_e32 v29, v48, v29
	v_add_f16_e32 v48, v25, v28
	v_mul_f16_e32 v49, 0x36a6, v48
	;; [unrolled: 5-line block ×3, first 2 shown]
	v_sub_f16_e32 v53, v10, v5
	v_fma_f16 v54, v53, s16, v52
	v_sub_f16_e32 v55, v22, v26
	v_add_f16_e32 v29, v54, v29
	v_add_f16_e32 v54, v11, v14
	v_mul_f16_e32 v56, 0x3853, v55
	v_fma_f16 v57, v54, s12, v56
	v_sub_f16_e32 v58, v21, v23
	v_add_f16_e32 v40, v57, v40
	v_add_f16_e32 v57, v12, v13
	v_mul_f16_e32 v59, 0xba0c, v58
	;; [unrolled: 5-line block ×4, first 2 shown]
	v_fma_f16 v66, v63, s10, v65
	v_add_f16_e32 v40, v66, v40
	v_mul_f16_e32 v66, 0xb93d, v32
	v_fma_f16 v67, v8, s18, v66
	v_mul_f16_e32 v68, 0xb08e, v33
	v_add_f16_e32 v67, v1, v67
	v_fma_f16 v69, v30, s17, v68
	v_add_f16_e32 v67, v69, v67
	v_mul_f16_e32 v69, 0x3abb, v45
	v_fma_f16 v70, v47, s19, v69
	v_add_f16_e32 v67, v70, v67
	v_mul_f16_e32 v70, 0xbbad, v48
	v_fma_f16 v71, v50, s14, v70
	v_add_f16_e32 v67, v71, v67
	v_mul_f16_e32 v71, 0x36a6, v51
	v_fma_f16 v72, v53, s15, v71
	v_add_f16_e32 v67, v72, v67
	v_mul_f16_e32 v72, 0x3beb, v55
	v_fma_f16 v73, v54, s10, v72
	v_add_f16_e32 v41, v73, v41
	v_mul_f16_e32 v73, 0xb853, v58
	v_fma_f16 v74, v57, s12, v73
	v_add_f16_e32 v41, v74, v41
	v_mul_f16_e32 v74, 0xb482, v61
	v_fma_f16 v75, v60, s6, v74
	v_add_f16_e32 v41, v75, v41
	v_mul_f16_e32 v75, 0x3b47, v64
	v_fma_f16 v76, v63, s11, v75
	v_add_f16_e32 v41, v76, v41
	v_mul_f16_e32 v76, 0xb08e, v32
	v_fma_f16 v77, v8, s16, v76
	v_mul_f16_e32 v78, 0xbbad, v33
	v_add_f16_e32 v77, v1, v77
	v_fma_f16 v79, v30, s20, v78
	v_add_f16_e32 v77, v79, v77
	v_mul_f16_e32 v79, 0x36a6, v45
	v_fma_f16 v80, v47, s15, v79
	v_add_f16_e32 v77, v80, v77
	v_mul_f16_e32 v80, 0x3abb, v48
	v_fma_f16 v81, v50, s19, v80
	v_add_f16_e32 v77, v81, v77
	v_mul_f16_e32 v81, 0xb93d, v51
	v_fma_f16 v82, v53, s18, v81
	v_add_f16_e32 v77, v82, v77
	v_mul_f16_e32 v82, 0x3482, v55
	v_fma_f16 v83, v54, s6, v82
	v_add_f16_e32 v42, v83, v42
	v_mul_f16_e32 v83, 0x3b47, v58
	v_fma_f16 v84, v57, s11, v83
	v_add_f16_e32 v42, v84, v42
	v_mul_f16_e32 v84, 0xb853, v61
	v_fma_f16 v85, v60, s12, v84
	v_add_f16_e32 v42, v85, v42
	v_mul_f16_e32 v85, 0xba0c, v64
	;; [unrolled: 27-line block ×3, first 2 shown]
	v_add_f16_e32 v11, v31, v11
	v_fma_f16 v96, v63, s12, v95
	v_mul_f16_e32 v32, 0x3abb, v32
	v_add_f16_e32 v11, v11, v12
	v_add_f16_e32 v43, v96, v43
	v_fma_f16 v96, v8, s19, v32
	v_mul_f16_e32 v33, 0x36a6, v33
	v_add_f16_e32 v9, v11, v9
	;; [unrolled: 4-line block ×4, first 2 shown]
	v_fma_f16 v9, v8, s20, v38
	v_add_f16_e32 v96, v97, v96
	v_fma_f16 v97, v50, s18, v48
	v_add_f16_e32 v9, v1, v9
	v_fma_f16 v10, v30, s19, v39
	s_mov_b32 s18, 0xba0c
	v_add_f16_e32 v9, v10, v9
	v_fma_f16 v10, v47, s18, v46
	v_add_f16_e32 v9, v10, v9
	v_fma_f16 v10, v50, s21, v49
	;; [unrolled: 2-line block ×3, first 2 shown]
	v_add_f16_e32 v9, v10, v9
	v_fma_f16 v10, v54, s12, -v56
	v_add_f16_e32 v10, v10, v34
	v_fma_f16 v11, v57, s7, -v59
	;; [unrolled: 2-line block ×4, first 2 shown]
	v_add_f16_e32 v10, v11, v10
	v_fma_f16 v11, v8, s18, v66
	v_add_f16_e32 v11, v1, v11
	v_fma_f16 v12, v30, s16, v68
	v_add_f16_e32 v11, v12, v11
	v_fma_f16 v12, v47, s13, v69
	v_add_f16_e32 v11, v12, v11
	v_fma_f16 v12, v50, s20, v70
	v_add_f16_e32 v11, v12, v11
	v_fma_f16 v12, v53, s21, v71
	v_add_f16_e32 v5, v5, v6
	v_add_f16_e32 v11, v12, v11
	v_fma_f16 v12, v54, s10, -v72
	v_add_f16_e32 v5, v5, v13
	v_add_f16_e32 v12, v12, v35
	v_fma_f16 v13, v57, s12, -v73
	v_add_f16_e32 v12, v13, v12
	v_fma_f16 v13, v60, s6, -v74
	;; [unrolled: 2-line block ×3, first 2 shown]
	v_add_f16_e32 v12, v13, v12
	v_fma_f16 v13, v8, s17, v76
	v_add_f16_e32 v5, v5, v14
	v_add_f16_e32 v6, v1, v19
	;; [unrolled: 1-line block ×3, first 2 shown]
	v_fma_f16 v14, v30, s14, v78
	v_add_f16_e32 v6, v6, v22
	v_add_f16_e32 v13, v14, v13
	v_fma_f16 v14, v47, s21, v79
	v_add_f16_e32 v6, v6, v21
	v_add_f16_e32 v13, v14, v13
	;; [unrolled: 3-line block ×4, first 2 shown]
	v_fma_f16 v14, v54, s6, -v82
	v_add_f16_e32 v6, v6, v16
	v_add_f16_e32 v14, v14, v36
	v_fma_f16 v16, v57, s11, -v83
	v_add_f16_e32 v14, v16, v14
	v_fma_f16 v16, v60, s12, -v84
	;; [unrolled: 2-line block ×3, first 2 shown]
	v_add_f16_e32 v14, v16, v14
	v_fma_f16 v16, v8, s15, v86
	v_fma_f16 v8, v8, s13, v32
	v_add_f16_e32 v16, v1, v16
	v_add_f16_e32 v1, v1, v8
	v_fma_f16 v8, v30, s15, v33
	v_add_f16_e32 v1, v8, v1
	v_fma_f16 v8, v47, s17, v45
	v_mul_f16_e32 v51, 0xbbad, v51
	v_add_f16_e32 v1, v8, v1
	v_fma_f16 v8, v50, s18, v48
	v_mul_f16_e32 v55, 0xbb47, v55
	v_add_f16_e32 v1, v8, v1
	v_fma_f16 v8, v53, s20, v51
	v_add_f16_e32 v96, v97, v96
	v_fma_f16 v97, v53, s14, v51
	v_mul_f16_e32 v58, 0xbbeb, v58
	v_add_f16_e32 v1, v8, v1
	v_fma_f16 v8, v54, s11, -v55
	v_add_f16_e32 v96, v97, v96
	v_fma_f16 v97, v54, s11, v55
	v_mul_f16_e32 v61, 0xba0c, v61
	v_fma_f16 v19, v30, s18, v88
	v_add_f16_e32 v7, v8, v7
	v_fma_f16 v8, v57, s10, -v58
	v_add_f16_e32 v44, v97, v44
	v_fma_f16 v97, v57, s10, v58
	v_mul_f16_e32 v64, 0xb482, v64
	v_add_f16_e32 v6, v6, v28
	v_add_f16_e32 v16, v19, v16
	v_fma_f16 v19, v47, s14, v89
	v_add_f16_e32 v7, v8, v7
	v_fma_f16 v8, v60, s7, -v61
	v_add_f16_e32 v44, v97, v44
	v_fma_f16 v97, v60, s7, v61
	v_add_f16_e32 v6, v6, v23
	v_add_f16_e32 v16, v19, v16
	v_fma_f16 v19, v50, s16, v90
	v_add_f16_e32 v7, v8, v7
	v_fma_f16 v8, v63, s6, -v64
	v_add_f16_e32 v44, v97, v44
	v_fma_f16 v97, v63, s6, v64
	v_add_f16_e32 v6, v6, v26
	v_add_f16_e32 v16, v19, v16
	v_fma_f16 v19, v53, s19, v91
	v_add_f16_e32 v7, v8, v7
	v_mul_u32_u24_e32 v8, 0x738, v17
	v_mov_b32_e32 v17, 2
	v_add_f16_e32 v44, v97, v44
	v_add_f16_e32 v5, v5, v24
	;; [unrolled: 1-line block ×4, first 2 shown]
	v_fma_f16 v19, v54, s7, -v92
	v_lshlrev_b32_sdwa v17, v17, v18 dst_sel:DWORD dst_unused:UNUSED_PAD src0_sel:DWORD src1_sel:BYTE_0
	v_add_f16_e32 v19, v19, v37
	v_fma_f16 v20, v57, s6, -v93
	v_add3_u32 v8, 0, v8, v17
	v_pack_b32_f16 v5, v5, v6
	v_pack_b32_f16 v6, v44, v96
	v_add_f16_e32 v19, v20, v19
	v_fma_f16 v20, v60, s10, -v94
	ds_write2_b32 v8, v5, v6 offset1:42
	v_pack_b32_f16 v5, v43, v87
	v_pack_b32_f16 v6, v42, v77
	v_add_f16_e32 v19, v20, v19
	v_fma_f16 v20, v63, s12, -v95
	ds_write2_b32 v8, v5, v6 offset0:84 offset1:126
	v_pack_b32_f16 v5, v41, v67
	v_pack_b32_f16 v6, v40, v29
	v_add_f16_e32 v19, v20, v19
	ds_write2_b32 v8, v5, v6 offset0:168 offset1:210
	v_pack_b32_f16 v5, v10, v9
	v_pack_b32_f16 v6, v12, v11
	v_add_u32_e32 v9, 0x200, v8
	ds_write2_b32 v9, v5, v6 offset0:124 offset1:166
	v_pack_b32_f16 v5, v14, v13
	v_pack_b32_f16 v6, v19, v16
	v_add_u32_e32 v9, 0x400, v8
	v_pack_b32_f16 v1, v7, v1
	ds_write2_b32 v9, v5, v6 offset0:80 offset1:122
	ds_write_b32 v8, v1 offset:1680
.LBB0_25:
	s_or_b64 exec, exec, s[4:5]
	v_lshlrev_b32_e32 v5, 1, v0
	v_mov_b32_e32 v6, 0
	v_lshlrev_b64 v[7:8], 2, v[5:6]
	v_mov_b32_e32 v5, v6
	v_mov_b32_e32 v1, s9
	v_add_co_u32_e32 v7, vcc, s8, v7
	v_lshlrev_b64 v[4:5], 2, v[4:5]
	v_addc_co_u32_e32 v8, vcc, v1, v8, vcc
	v_add_co_u32_e32 v4, vcc, s8, v4
	s_waitcnt lgkmcnt(0)
	s_barrier
	global_load_dwordx2 v[7:8], v[7:8], off offset:1840
	v_addc_co_u32_e32 v5, vcc, v1, v5, vcc
	global_load_dwordx2 v[4:5], v[4:5], off offset:1840
	v_add_u32_e32 v1, 0x700, v15
	ds_read2_b32 v[9:10], v15 offset1:231
	v_add_u32_e32 v16, 0xe40, v15
	ds_read2_b32 v[11:12], v1 offset0:14 offset1:245
	ds_read2_b32 v[13:14], v16 offset0:12 offset1:243
	s_mov_b32 s4, 0xbaee
	s_movk_i32 s5, 0x3aee
	s_waitcnt lgkmcnt(2)
	v_lshrrev_b32_e32 v18, 16, v9
	s_waitcnt lgkmcnt(1)
	v_lshrrev_b32_e32 v19, 16, v11
	;; [unrolled: 2-line block ×3, first 2 shown]
	v_lshrrev_b32_e32 v21, 16, v12
	v_lshrrev_b32_e32 v22, 16, v14
	;; [unrolled: 1-line block ×3, first 2 shown]
	s_waitcnt vmcnt(0)
	s_barrier
	v_mul_f16_sdwa v23, v7, v19 dst_sel:DWORD dst_unused:UNUSED_PAD src0_sel:WORD_1 src1_sel:DWORD
	v_mul_f16_sdwa v24, v7, v11 dst_sel:DWORD dst_unused:UNUSED_PAD src0_sel:WORD_1 src1_sel:DWORD
	;; [unrolled: 1-line block ×4, first 2 shown]
	v_fma_f16 v11, v7, v11, v23
	v_fma_f16 v7, v7, v19, -v24
	v_fma_f16 v13, v8, v13, v25
	v_fma_f16 v8, v8, v20, -v26
	v_mul_f16_sdwa v19, v4, v21 dst_sel:DWORD dst_unused:UNUSED_PAD src0_sel:WORD_1 src1_sel:DWORD
	v_mul_f16_sdwa v20, v4, v12 dst_sel:DWORD dst_unused:UNUSED_PAD src0_sel:WORD_1 src1_sel:DWORD
	;; [unrolled: 1-line block ×4, first 2 shown]
	v_fma_f16 v12, v4, v12, v19
	v_fma_f16 v4, v4, v21, -v20
	v_fma_f16 v14, v5, v14, v23
	v_fma_f16 v5, v5, v22, -v24
	v_add_f16_e32 v19, v11, v9
	v_add_f16_e32 v20, v11, v13
	v_sub_f16_e32 v21, v7, v8
	v_add_f16_e32 v22, v7, v18
	v_add_f16_e32 v7, v7, v8
	v_sub_f16_e32 v11, v11, v13
	v_add_f16_e32 v13, v19, v13
	v_fma_f16 v9, v20, -0.5, v9
	v_add_f16_e32 v8, v22, v8
	v_fma_f16 v7, v7, -0.5, v18
	v_add_f16_e32 v18, v10, v12
	v_add_f16_e32 v19, v12, v14
	v_sub_f16_e32 v20, v4, v5
	v_add_f16_e32 v22, v17, v4
	v_add_f16_e32 v4, v4, v5
	v_sub_f16_e32 v12, v12, v14
	v_fma_f16 v23, v21, s4, v9
	v_fma_f16 v9, v21, s5, v9
	v_fma_f16 v21, v11, s5, v7
	v_fma_f16 v7, v11, s4, v7
	v_add_f16_e32 v11, v18, v14
	v_fma_f16 v10, v19, -0.5, v10
	v_add_f16_e32 v5, v22, v5
	v_fma_f16 v4, v4, -0.5, v17
	v_pack_b32_f16 v8, v13, v8
	v_fma_f16 v13, v20, s4, v10
	v_fma_f16 v14, v12, s5, v4
	v_pack_b32_f16 v5, v11, v5
	v_fma_f16 v10, v20, s5, v10
	v_fma_f16 v4, v12, s4, v4
	v_pack_b32_f16 v12, v23, v21
	ds_write2_b32 v15, v8, v5 offset1:231
	v_pack_b32_f16 v5, v13, v14
	v_pack_b32_f16 v7, v9, v7
	;; [unrolled: 1-line block ×3, first 2 shown]
	ds_write2_b32 v1, v12, v5 offset0:14 offset1:245
	ds_write2_b32 v16, v7, v4 offset0:12 offset1:243
	s_waitcnt lgkmcnt(0)
	s_barrier
	s_and_saveexec_b64 s[4:5], s[0:1]
	s_cbranch_execz .LBB0_27
; %bb.26:
	v_lshl_add_u32 v9, v0, 2, 0
	v_mov_b32_e32 v1, v6
	ds_read2_b32 v[7:8], v9 offset1:231
	v_mov_b32_e32 v4, s3
	v_add_co_u32_e32 v10, vcc, s2, v2
	v_lshlrev_b64 v[1:2], 2, v[0:1]
	v_addc_co_u32_e32 v11, vcc, v4, v3, vcc
	v_add_co_u32_e32 v1, vcc, v10, v1
	v_addc_co_u32_e32 v2, vcc, v11, v2, vcc
	v_add_u32_e32 v5, 0xe7, v0
	s_waitcnt lgkmcnt(0)
	global_store_dword v[1:2], v7, off
	v_lshlrev_b64 v[1:2], 2, v[5:6]
	v_add_u32_e32 v5, 0x1ce, v0
	v_add_co_u32_e32 v1, vcc, v10, v1
	v_addc_co_u32_e32 v2, vcc, v11, v2, vcc
	global_store_dword v[1:2], v8, off
	v_add_u32_e32 v1, 0x700, v9
	ds_read2_b32 v[1:2], v1 offset0:14 offset1:245
	v_lshlrev_b64 v[3:4], 2, v[5:6]
	v_add_u32_e32 v5, 0x2b5, v0
	v_add_co_u32_e32 v3, vcc, v10, v3
	v_addc_co_u32_e32 v4, vcc, v11, v4, vcc
	s_waitcnt lgkmcnt(0)
	global_store_dword v[3:4], v1, off
	v_lshlrev_b64 v[3:4], 2, v[5:6]
	v_add_u32_e32 v1, 0xe40, v9
	v_add_co_u32_e32 v3, vcc, v10, v3
	v_addc_co_u32_e32 v4, vcc, v11, v4, vcc
	global_store_dword v[3:4], v2, off
	v_add_u32_e32 v5, 0x39c, v0
	ds_read2_b32 v[1:2], v1 offset0:12 offset1:243
	v_lshlrev_b64 v[3:4], 2, v[5:6]
	v_add_u32_e32 v5, 0x483, v0
	v_add_co_u32_e32 v3, vcc, v10, v3
	v_addc_co_u32_e32 v4, vcc, v11, v4, vcc
	s_waitcnt lgkmcnt(0)
	global_store_dword v[3:4], v1, off
	v_lshlrev_b64 v[0:1], 2, v[5:6]
	v_add_co_u32_e32 v0, vcc, v10, v0
	v_addc_co_u32_e32 v1, vcc, v11, v1, vcc
	global_store_dword v[0:1], v2, off
.LBB0_27:
	s_endpgm
	.section	.rodata,"a",@progbits
	.p2align	6, 0x0
	.amdhsa_kernel fft_rtc_back_len1386_factors_2_7_3_11_3_wgs_231_tpt_231_halfLds_half_ip_CI_unitstride_sbrr_C2R_dirReg
		.amdhsa_group_segment_fixed_size 0
		.amdhsa_private_segment_fixed_size 0
		.amdhsa_kernarg_size 88
		.amdhsa_user_sgpr_count 6
		.amdhsa_user_sgpr_private_segment_buffer 1
		.amdhsa_user_sgpr_dispatch_ptr 0
		.amdhsa_user_sgpr_queue_ptr 0
		.amdhsa_user_sgpr_kernarg_segment_ptr 1
		.amdhsa_user_sgpr_dispatch_id 0
		.amdhsa_user_sgpr_flat_scratch_init 0
		.amdhsa_user_sgpr_private_segment_size 0
		.amdhsa_uses_dynamic_stack 0
		.amdhsa_system_sgpr_private_segment_wavefront_offset 0
		.amdhsa_system_sgpr_workgroup_id_x 1
		.amdhsa_system_sgpr_workgroup_id_y 0
		.amdhsa_system_sgpr_workgroup_id_z 0
		.amdhsa_system_sgpr_workgroup_info 0
		.amdhsa_system_vgpr_workitem_id 0
		.amdhsa_next_free_vgpr 98
		.amdhsa_next_free_sgpr 22
		.amdhsa_reserve_vcc 1
		.amdhsa_reserve_flat_scratch 0
		.amdhsa_float_round_mode_32 0
		.amdhsa_float_round_mode_16_64 0
		.amdhsa_float_denorm_mode_32 3
		.amdhsa_float_denorm_mode_16_64 3
		.amdhsa_dx10_clamp 1
		.amdhsa_ieee_mode 1
		.amdhsa_fp16_overflow 0
		.amdhsa_exception_fp_ieee_invalid_op 0
		.amdhsa_exception_fp_denorm_src 0
		.amdhsa_exception_fp_ieee_div_zero 0
		.amdhsa_exception_fp_ieee_overflow 0
		.amdhsa_exception_fp_ieee_underflow 0
		.amdhsa_exception_fp_ieee_inexact 0
		.amdhsa_exception_int_div_zero 0
	.end_amdhsa_kernel
	.text
.Lfunc_end0:
	.size	fft_rtc_back_len1386_factors_2_7_3_11_3_wgs_231_tpt_231_halfLds_half_ip_CI_unitstride_sbrr_C2R_dirReg, .Lfunc_end0-fft_rtc_back_len1386_factors_2_7_3_11_3_wgs_231_tpt_231_halfLds_half_ip_CI_unitstride_sbrr_C2R_dirReg
                                        ; -- End function
	.section	.AMDGPU.csdata,"",@progbits
; Kernel info:
; codeLenInByte = 7180
; NumSgprs: 26
; NumVgprs: 98
; ScratchSize: 0
; MemoryBound: 0
; FloatMode: 240
; IeeeMode: 1
; LDSByteSize: 0 bytes/workgroup (compile time only)
; SGPRBlocks: 3
; VGPRBlocks: 24
; NumSGPRsForWavesPerEU: 26
; NumVGPRsForWavesPerEU: 98
; Occupancy: 2
; WaveLimiterHint : 1
; COMPUTE_PGM_RSRC2:SCRATCH_EN: 0
; COMPUTE_PGM_RSRC2:USER_SGPR: 6
; COMPUTE_PGM_RSRC2:TRAP_HANDLER: 0
; COMPUTE_PGM_RSRC2:TGID_X_EN: 1
; COMPUTE_PGM_RSRC2:TGID_Y_EN: 0
; COMPUTE_PGM_RSRC2:TGID_Z_EN: 0
; COMPUTE_PGM_RSRC2:TIDIG_COMP_CNT: 0
	.type	__hip_cuid_a19c4e3708806690,@object ; @__hip_cuid_a19c4e3708806690
	.section	.bss,"aw",@nobits
	.globl	__hip_cuid_a19c4e3708806690
__hip_cuid_a19c4e3708806690:
	.byte	0                               ; 0x0
	.size	__hip_cuid_a19c4e3708806690, 1

	.ident	"AMD clang version 19.0.0git (https://github.com/RadeonOpenCompute/llvm-project roc-6.4.0 25133 c7fe45cf4b819c5991fe208aaa96edf142730f1d)"
	.section	".note.GNU-stack","",@progbits
	.addrsig
	.addrsig_sym __hip_cuid_a19c4e3708806690
	.amdgpu_metadata
---
amdhsa.kernels:
  - .args:
      - .actual_access:  read_only
        .address_space:  global
        .offset:         0
        .size:           8
        .value_kind:     global_buffer
      - .offset:         8
        .size:           8
        .value_kind:     by_value
      - .actual_access:  read_only
        .address_space:  global
        .offset:         16
        .size:           8
        .value_kind:     global_buffer
      - .actual_access:  read_only
        .address_space:  global
        .offset:         24
        .size:           8
        .value_kind:     global_buffer
      - .offset:         32
        .size:           8
        .value_kind:     by_value
      - .actual_access:  read_only
        .address_space:  global
        .offset:         40
        .size:           8
        .value_kind:     global_buffer
      - .actual_access:  read_only
        .address_space:  global
        .offset:         48
        .size:           8
        .value_kind:     global_buffer
      - .offset:         56
        .size:           4
        .value_kind:     by_value
      - .actual_access:  read_only
        .address_space:  global
        .offset:         64
        .size:           8
        .value_kind:     global_buffer
      - .actual_access:  read_only
        .address_space:  global
        .offset:         72
        .size:           8
        .value_kind:     global_buffer
      - .address_space:  global
        .offset:         80
        .size:           8
        .value_kind:     global_buffer
    .group_segment_fixed_size: 0
    .kernarg_segment_align: 8
    .kernarg_segment_size: 88
    .language:       OpenCL C
    .language_version:
      - 2
      - 0
    .max_flat_workgroup_size: 231
    .name:           fft_rtc_back_len1386_factors_2_7_3_11_3_wgs_231_tpt_231_halfLds_half_ip_CI_unitstride_sbrr_C2R_dirReg
    .private_segment_fixed_size: 0
    .sgpr_count:     26
    .sgpr_spill_count: 0
    .symbol:         fft_rtc_back_len1386_factors_2_7_3_11_3_wgs_231_tpt_231_halfLds_half_ip_CI_unitstride_sbrr_C2R_dirReg.kd
    .uniform_work_group_size: 1
    .uses_dynamic_stack: false
    .vgpr_count:     98
    .vgpr_spill_count: 0
    .wavefront_size: 64
amdhsa.target:   amdgcn-amd-amdhsa--gfx906
amdhsa.version:
  - 1
  - 2
...

	.end_amdgpu_metadata
